;; amdgpu-corpus repo=llvm/llvm-project kind=harvested arch=n/a opt=n/a
// NOTE: Assertions have been autogenerated by utils/update_mc_test_checks.py UTC_ARGS: --unique --sort --version 6
// RUN: llvm-mc -triple=amdgcn -mcpu=gfx900 -show-encoding %s | FileCheck -check-prefix=GFX9 %s
// RUN: not llvm-mc -triple=amdgcn -mcpu=tonga -filetype=null 2>&1 %s | FileCheck -check-prefix=VI-ERR --implicit-check-not=error: %s

ds_read_addtid_b32 v8
// GFX9: ds_read_addtid_b32 v8                   ; encoding: [0x00,0x00,0x6c,0xd9,0x00,0x00,0x00,0x08]
// VI-ERR: :[[@LINE-2]]:1: error: instruction not supported on this GPU (tonga): ds_read_addtid_b32

ds_read_i8_d16 v8, v2
// GFX9: ds_read_i8_d16 v8, v2                   ; encoding: [0x00,0x00,0xb0,0xd8,0x02,0x00,0x00,0x08]
// VI-ERR: :[[@LINE-2]]:1: error: instruction not supported on this GPU (tonga): ds_read_i8_d16

ds_read_i8_d16_hi v8, v2
// GFX9: ds_read_i8_d16_hi v8, v2                ; encoding: [0x00,0x00,0xb2,0xd8,0x02,0x00,0x00,0x08]
// VI-ERR: :[[@LINE-2]]:1: error: instruction not supported on this GPU (tonga): ds_read_i8_d16_hi

ds_read_u16_d16 v8, v2
// GFX9: ds_read_u16_d16 v8, v2                  ; encoding: [0x00,0x00,0xb4,0xd8,0x02,0x00,0x00,0x08]
// VI-ERR: :[[@LINE-2]]:1: error: instruction not supported on this GPU (tonga): ds_read_u16_d16

ds_read_u16_d16_hi v8, v2
// GFX9: ds_read_u16_d16_hi v8, v2               ; encoding: [0x00,0x00,0xb6,0xd8,0x02,0x00,0x00,0x08]
// VI-ERR: :[[@LINE-2]]:1: error: instruction not supported on this GPU (tonga): ds_read_u16_d16_hi

ds_read_u8_d16 v8, v2
// GFX9: ds_read_u8_d16 v8, v2                   ; encoding: [0x00,0x00,0xac,0xd8,0x02,0x00,0x00,0x08]
// VI-ERR: :[[@LINE-2]]:1: error: instruction not supported on this GPU (tonga): ds_read_u8_d16

ds_read_u8_d16_hi v8, v2
// GFX9: ds_read_u8_d16_hi v8, v2                ; encoding: [0x00,0x00,0xae,0xd8,0x02,0x00,0x00,0x08]
// VI-ERR: :[[@LINE-2]]:1: error: instruction not supported on this GPU (tonga): ds_read_u8_d16_hi

ds_write_addtid_b32 v8
// GFX9: ds_write_addtid_b32 v8                  ; encoding: [0x00,0x00,0x3a,0xd8,0x00,0x08,0x00,0x00]
// VI-ERR: :[[@LINE-2]]:1: error: instruction not supported on this GPU (tonga): ds_write_addtid_b32

ds_write_b16_d16_hi v8, v2
// GFX9: ds_write_b16_d16_hi v8, v2              ; encoding: [0x00,0x00,0xaa,0xd8,0x08,0x02,0x00,0x00]
// VI-ERR: :[[@LINE-2]]:1: error: instruction not supported on this GPU (tonga): ds_write_b16_d16_hi

ds_write_b8_d16_hi v8, v2
// GFX9: ds_write_b8_d16_hi v8, v2               ; encoding: [0x00,0x00,0xa8,0xd8,0x08,0x02,0x00,0x00]
// VI-ERR: :[[@LINE-2]]:1: error: instruction not supported on this GPU (tonga): ds_write_b8_d16_hi
